;; amdgpu-corpus repo=ROCm/rocFFT kind=compiled arch=gfx906 opt=O3
	.text
	.amdgcn_target "amdgcn-amd-amdhsa--gfx906"
	.amdhsa_code_object_version 6
	.protected	fft_rtc_fwd_len192_factors_2_2_6_8_wgs_256_tpt_16_dim2_sp_ip_CI_sbcc_twdbase8_2step_dirReg_intrinsicReadWrite ; -- Begin function fft_rtc_fwd_len192_factors_2_2_6_8_wgs_256_tpt_16_dim2_sp_ip_CI_sbcc_twdbase8_2step_dirReg_intrinsicReadWrite
	.globl	fft_rtc_fwd_len192_factors_2_2_6_8_wgs_256_tpt_16_dim2_sp_ip_CI_sbcc_twdbase8_2step_dirReg_intrinsicReadWrite
	.p2align	8
	.type	fft_rtc_fwd_len192_factors_2_2_6_8_wgs_256_tpt_16_dim2_sp_ip_CI_sbcc_twdbase8_2step_dirReg_intrinsicReadWrite,@function
fft_rtc_fwd_len192_factors_2_2_6_8_wgs_256_tpt_16_dim2_sp_ip_CI_sbcc_twdbase8_2step_dirReg_intrinsicReadWrite: ; @fft_rtc_fwd_len192_factors_2_2_6_8_wgs_256_tpt_16_dim2_sp_ip_CI_sbcc_twdbase8_2step_dirReg_intrinsicReadWrite
; %bb.0:
	s_load_dwordx4 s[0:3], s[4:5], 0x10
	s_mov_b32 s7, 0
	s_mov_b64 s[16:17], 0
	s_waitcnt lgkmcnt(0)
	s_load_dwordx2 s[10:11], s[0:1], 0x8
	s_load_dwordx2 s[14:15], s[4:5], 0x0
	;; [unrolled: 1-line block ×4, first 2 shown]
	s_waitcnt lgkmcnt(0)
	s_add_u32 s0, s10, -1
	s_addc_u32 s1, s11, -1
	s_lshr_b64 s[0:1], s[0:1], 4
	s_add_u32 s0, s0, 1
	s_addc_u32 s1, s1, 0
	v_mov_b32_e32 v2, s1
	v_mov_b32_e32 v1, s0
	v_cmp_lt_u64_e32 vcc, s[6:7], v[1:2]
	s_cbranch_vccnz .LBB0_2
; %bb.1:
	v_cvt_f32_u32_e32 v1, s0
	s_sub_i32 s7, 0, s0
	v_rcp_iflag_f32_e32 v1, v1
	v_mul_f32_e32 v1, 0x4f7ffffe, v1
	v_cvt_u32_f32_e32 v1, v1
	v_readfirstlane_b32 s13, v1
	s_mul_i32 s7, s7, s13
	s_mul_hi_u32 s7, s13, s7
	s_add_i32 s13, s13, s7
	s_mul_hi_u32 s7, s6, s13
	s_mul_i32 s16, s7, s0
	s_sub_i32 s16, s6, s16
	s_add_i32 s13, s7, 1
	s_sub_i32 s17, s16, s0
	s_cmp_ge_u32 s16, s0
	s_cselect_b32 s7, s13, s7
	s_cselect_b32 s16, s17, s16
	s_add_i32 s13, s7, 1
	s_cmp_ge_u32 s16, s0
	s_cselect_b32 s16, s13, s7
.LBB0_2:
	s_mul_i32 s1, s16, s1
	s_mul_hi_u32 s7, s16, s0
	s_load_dwordx4 s[20:23], s[2:3], 0x8
	s_add_i32 s7, s7, s1
	s_mul_i32 s0, s16, s0
	s_sub_u32 s0, s6, s0
	s_subb_u32 s1, 0, s7
	s_lshl_b64 s[0:1], s[0:1], 4
	s_waitcnt lgkmcnt(0)
	s_mul_i32 s2, s0, s20
	s_mul_i32 s3, s22, s16
	v_and_b32_e32 v24, 15, v0
	v_lshrrev_b32_e32 v40, 4, v0
	s_add_i32 s6, s3, s2
	v_mad_u64_u32 v[25:26], s[2:3], s20, v24, 0
	v_or_b32_e32 v42, 0x60, v40
	v_or_b32_e32 v27, s0, v24
	s_add_u32 s0, s0, 16
	v_mov_b32_e32 v1, s10
	v_mul_lo_u32 v36, s12, v42
	v_or_b32_e32 v26, 16, v40
	v_mov_b32_e32 v28, s1
	s_addc_u32 s1, s1, 0
	v_mul_lo_u32 v37, s12, v40
	v_mov_b32_e32 v2, s11
	v_mul_lo_u32 v3, s12, v26
	v_or_b32_e32 v4, 0x70, v40
	v_cmp_le_u64_e64 s[0:1], s[0:1], v[1:2]
	v_cmp_gt_u64_e32 vcc, s[10:11], v[27:28]
	v_mul_lo_u32 v4, s12, v4
	s_or_b64 s[2:3], s[0:1], vcc
	v_add_lshl_u32 v2, v25, v36, 3
	v_add_lshl_u32 v1, v25, v37, 3
	v_cndmask_b32_e64 v10, -1, v2, s[2:3]
	v_add_lshl_u32 v2, v25, v3, 3
	s_lshl_b32 s13, s6, 3
	v_cndmask_b32_e64 v1, -1, v1, s[2:3]
	s_mov_b32 s11, 0x20000
	s_mov_b32 s10, -2
	v_cndmask_b32_e64 v11, -1, v2, s[2:3]
	v_add_lshl_u32 v2, v25, v4, 3
	v_cndmask_b32_e64 v12, -1, v2, s[2:3]
	buffer_load_dwordx2 v[2:3], v1, s[8:11], s13 offen
	buffer_load_dwordx2 v[4:5], v10, s[8:11], s13 offen
	;; [unrolled: 1-line block ×4, first 2 shown]
	v_or_b32_e32 v35, 32, v40
	v_or_b32_e32 v1, 0x80, v40
	v_mul_lo_u32 v11, s12, v35
	v_mul_lo_u32 v1, s12, v1
	v_or_b32_e32 v43, 48, v40
	v_or_b32_e32 v41, 0x90, v40
	v_mul_lo_u32 v39, s12, v43
	v_or_b32_e32 v10, 0xa0, v40
	v_or_b32_e32 v45, 64, v40
	v_mul_lo_u32 v38, s12, v41
	v_mul_lo_u32 v18, s12, v10
	;; [unrolled: 1-line block ×3, first 2 shown]
	v_add_lshl_u32 v10, v25, v11, 3
	v_add_lshl_u32 v1, v25, v1, 3
	v_or_b32_e32 v14, 0xb0, v40
	v_or_b32_e32 v46, 0x50, v40
	v_cndmask_b32_e64 v15, -1, v10, s[2:3]
	v_cndmask_b32_e64 v1, -1, v1, s[2:3]
	buffer_load_dwordx2 v[10:11], v15, s[8:11], s13 offen
	buffer_load_dwordx2 v[12:13], v1, s[8:11], s13 offen
	v_mul_lo_u32 v1, s12, v14
	v_add_lshl_u32 v14, v25, v39, 3
	v_mul_lo_u32 v22, s12, v46
	v_add_lshl_u32 v15, v25, v38, 3
	v_cndmask_b32_e64 v20, -1, v14, s[2:3]
	v_cndmask_b32_e64 v21, -1, v15, s[2:3]
	buffer_load_dwordx2 v[14:15], v20, s[8:11], s13 offen
	buffer_load_dwordx2 v[16:17], v21, s[8:11], s13 offen
	v_add_lshl_u32 v19, v25, v19, 3
	v_add_lshl_u32 v18, v25, v18, 3
	v_cndmask_b32_e64 v23, -1, v19, s[2:3]
	v_cndmask_b32_e64 v28, -1, v18, s[2:3]
	buffer_load_dwordx2 v[18:19], v23, s[8:11], s13 offen
	buffer_load_dwordx2 v[20:21], v28, s[8:11], s13 offen
	v_add_lshl_u32 v22, v25, v22, 3
	v_cndmask_b32_e64 v30, -1, v22, s[2:3]
	v_add_lshl_u32 v1, v25, v1, 3
	v_cndmask_b32_e64 v1, -1, v1, s[2:3]
	buffer_load_dwordx2 v[22:23], v30, s[8:11], s13 offen
	buffer_load_dwordx2 v[28:29], v1, s[8:11], s13 offen
	v_lshlrev_b32_e32 v30, 8, v40
	v_lshlrev_b32_e32 v1, 3, v24
	v_add3_u32 v24, 0, v30, v1
	v_lshlrev_b32_e32 v30, 8, v26
	v_add3_u32 v31, 0, v30, v1
	s_movk_i32 s6, 0x5c
	s_movk_i32 s18, 0x80
	s_waitcnt vmcnt(10)
	v_sub_f32_e32 v4, v2, v4
	v_sub_f32_e32 v5, v3, v5
	s_waitcnt vmcnt(8)
	v_sub_f32_e32 v8, v6, v8
	v_fma_f32 v2, v2, 2.0, -v4
	v_fma_f32 v3, v3, 2.0, -v5
	v_sub_f32_e32 v9, v7, v9
	ds_write2_b64 v24, v[2:3], v[4:5] offset1:16
	v_fma_f32 v2, v6, 2.0, -v8
	v_fma_f32 v3, v7, 2.0, -v9
	ds_write2_b64 v31, v[2:3], v[8:9] offset1:16
	v_lshlrev_b32_e32 v6, 8, v35
	v_add3_u32 v6, 0, v6, v1
	v_lshlrev_b32_e32 v7, 8, v43
	v_add3_u32 v7, 0, v7, v1
	;; [unrolled: 2-line block ×4, first 2 shown]
	v_bfe_u32 v24, v0, 4, 1
	s_waitcnt vmcnt(6)
	v_sub_f32_e32 v2, v10, v12
	v_sub_f32_e32 v3, v11, v13
	v_fma_f32 v4, v10, 2.0, -v2
	v_fma_f32 v5, v11, 2.0, -v3
	ds_write2_b64 v6, v[4:5], v[2:3] offset1:16
	v_lshlrev_b32_e32 v10, 7, v45
	v_lshlrev_b32_e32 v11, 7, v46
	s_waitcnt vmcnt(4)
	v_sub_f32_e32 v2, v14, v16
	v_sub_f32_e32 v3, v15, v17
	v_fma_f32 v4, v14, 2.0, -v2
	v_fma_f32 v5, v15, 2.0, -v3
	ds_write2_b64 v7, v[4:5], v[2:3] offset1:16
	s_waitcnt vmcnt(2)
	v_sub_f32_e32 v2, v18, v20
	v_sub_f32_e32 v3, v19, v21
	v_fma_f32 v4, v18, 2.0, -v2
	v_fma_f32 v5, v19, 2.0, -v3
	ds_write2_b64 v8, v[4:5], v[2:3] offset1:16
	;; [unrolled: 6-line block ×3, first 2 shown]
	v_lshlrev_b32_e32 v2, 3, v24
	s_waitcnt lgkmcnt(0)
	s_barrier
	global_load_dwordx2 v[16:17], v2, s[14:15]
	v_and_b32_e32 v2, 0xf0, v0
	v_lshrrev_b32_e32 v3, 3, v0
	v_lshlrev_b32_e32 v2, 3, v2
	v_and_or_b32 v3, v3, 28, v24
	v_add3_u32 v30, 0, v2, v1
	v_lshlrev_b32_e32 v2, 7, v26
	v_lshlrev_b32_e32 v4, 7, v35
	;; [unrolled: 1-line block ×4, first 2 shown]
	v_sub_u32_e32 v48, v8, v10
	v_sub_u32_e32 v8, v9, v11
	v_add3_u32 v47, 0, v3, v1
	v_sub_u32_e32 v44, v31, v2
	v_sub_u32_e32 v6, v6, v4
	;; [unrolled: 1-line block ×3, first 2 shown]
	ds_read2st64_b64 v[2:5], v30 offset1:24
	ds_read_b64 v[18:19], v8
	ds_read_b64 v[20:21], v48
	;; [unrolled: 1-line block ×5, first 2 shown]
	ds_read_b64 v[33:34], v30 offset:22528
	ds_read2st64_b64 v[8:11], v30 offset0:28 offset1:32
	ds_read2st64_b64 v[12:15], v30 offset0:36 offset1:40
	s_waitcnt vmcnt(0) lgkmcnt(0)
	s_barrier
	v_mul_f32_e32 v49, v17, v5
	v_mul_f32_e32 v50, v17, v4
	v_fma_f32 v4, v16, v4, -v49
	v_fmac_f32_e32 v50, v16, v5
	v_sub_f32_e32 v4, v2, v4
	v_sub_f32_e32 v5, v3, v50
	v_fma_f32 v2, v2, 2.0, -v4
	v_fma_f32 v3, v3, 2.0, -v5
	v_mul_f32_e32 v51, v17, v9
	v_mul_f32_e32 v52, v17, v8
	ds_write2_b64 v47, v[2:3], v[4:5] offset1:32
	v_lshlrev_b32_e32 v2, 1, v26
	v_fma_f32 v8, v16, v8, -v51
	v_fmac_f32_e32 v52, v16, v9
	v_and_or_b32 v2, v2, 60, v24
	v_sub_f32_e32 v8, v31, v8
	v_sub_f32_e32 v9, v32, v52
	v_lshlrev_b32_e32 v2, 7, v2
	v_fma_f32 v31, v31, 2.0, -v8
	v_fma_f32 v32, v32, 2.0, -v9
	v_add3_u32 v2, 0, v2, v1
	ds_write2_b64 v2, v[31:32], v[8:9] offset1:32
	v_mul_f32_e32 v2, v17, v11
	v_mul_f32_e32 v3, v17, v10
	v_lshlrev_b32_e32 v8, 1, v35
	v_fma_f32 v2, v16, v10, -v2
	v_fmac_f32_e32 v3, v16, v11
	v_and_or_b32 v8, v8, s6, v24
	v_sub_f32_e32 v2, v28, v2
	v_sub_f32_e32 v3, v29, v3
	v_lshlrev_b32_e32 v8, 7, v8
	v_fma_f32 v4, v28, 2.0, -v2
	v_fma_f32 v5, v29, 2.0, -v3
	v_add3_u32 v8, 0, v8, v1
	ds_write2_b64 v8, v[4:5], v[2:3] offset1:32
	v_mul_f32_e32 v2, v17, v13
	v_mul_f32_e32 v3, v17, v12
	s_movk_i32 s6, 0x7c
	v_lshlrev_b32_e32 v8, 1, v43
	v_fma_f32 v2, v16, v12, -v2
	v_fmac_f32_e32 v3, v16, v13
	v_and_or_b32 v8, v8, s6, v24
	v_sub_f32_e32 v2, v22, v2
	v_sub_f32_e32 v3, v23, v3
	v_lshlrev_b32_e32 v8, 7, v8
	v_fma_f32 v4, v22, 2.0, -v2
	v_fma_f32 v5, v23, 2.0, -v3
	v_add3_u32 v8, 0, v8, v1
	ds_write2_b64 v8, v[4:5], v[2:3] offset1:32
	v_mul_f32_e32 v2, v17, v15
	v_mul_f32_e32 v3, v17, v14
	v_lshlrev_b32_e32 v8, 1, v45
	s_movk_i32 s6, 0x9c
	v_fma_f32 v2, v16, v14, -v2
	v_fmac_f32_e32 v3, v16, v15
	v_and_or_b32 v8, v8, s6, v24
	v_sub_f32_e32 v2, v20, v2
	v_sub_f32_e32 v3, v21, v3
	v_lshlrev_b32_e32 v8, 7, v8
	v_fma_f32 v4, v20, 2.0, -v2
	v_fma_f32 v5, v21, 2.0, -v3
	v_add3_u32 v8, 0, v8, v1
	ds_write2_b64 v8, v[4:5], v[2:3] offset1:32
	v_mul_f32_e32 v2, v17, v34
	v_mul_f32_e32 v3, v16, v34
	v_lshlrev_b32_e32 v8, 1, v46
	s_movk_i32 s6, 0xbc
	v_fma_f32 v2, v16, v33, -v2
	v_fmac_f32_e32 v3, v17, v33
	v_and_or_b32 v8, v8, s6, v24
	v_sub_f32_e32 v2, v18, v2
	v_sub_f32_e32 v3, v19, v3
	v_lshlrev_b32_e32 v8, 7, v8
	v_fma_f32 v4, v18, 2.0, -v2
	v_fma_f32 v5, v19, 2.0, -v3
	v_add3_u32 v8, 0, v8, v1
	v_bfe_u32 v24, v0, 4, 2
	ds_write2_b64 v8, v[4:5], v[2:3] offset1:32
	v_mul_u32_u24_e32 v2, 5, v24
	v_lshlrev_b32_e32 v12, 3, v2
	s_waitcnt lgkmcnt(0)
	s_barrier
	global_load_dwordx4 v[2:5], v12, s[14:15] offset:32
	global_load_dwordx2 v[28:29], v12, s[14:15] offset:48
	global_load_dwordx4 v[8:11], v12, s[14:15] offset:16
	ds_read2st64_b64 v[12:15], v30 offset0:28 offset1:32
	ds_read2st64_b64 v[16:19], v30 offset0:20 offset1:24
	;; [unrolled: 1-line block ×3, first 2 shown]
	v_lshrrev_b32_e32 v51, 6, v0
	v_mul_u32_u24_e32 v51, 24, v51
	v_or_b32_e32 v51, v51, v24
	v_lshlrev_b32_e32 v51, 7, v51
	v_add3_u32 v51, 0, v51, v1
	v_cmp_gt_u32_e64 s[6:7], s18, v0
	s_waitcnt vmcnt(2) lgkmcnt(2)
	v_mul_f32_e32 v33, v13, v3
	v_mul_f32_e32 v34, v12, v3
	v_fma_f32 v33, v12, v2, -v33
	s_waitcnt lgkmcnt(1)
	v_mul_f32_e32 v12, v3, v19
	v_mul_f32_e32 v35, v3, v18
	v_fmac_f32_e32 v34, v13, v2
	v_fma_f32 v18, v2, v18, -v12
	v_fmac_f32_e32 v35, v2, v19
	s_waitcnt lgkmcnt(0)
	v_mul_f32_e32 v2, v21, v5
	v_fma_f32 v19, v20, v4, -v2
	v_mul_f32_e32 v20, v20, v5
	s_waitcnt vmcnt(1)
	v_mul_f32_e32 v2, v29, v23
	v_fmac_f32_e32 v20, v21, v4
	v_fma_f32 v21, v28, v22, -v2
	v_mul_f32_e32 v22, v29, v22
	s_waitcnt vmcnt(0)
	v_mul_f32_e32 v2, v17, v11
	v_fmac_f32_e32 v22, v28, v23
	v_fma_f32 v23, v16, v10, -v2
	ds_read_b64 v[2:3], v6
	v_mul_f32_e32 v31, v5, v15
	v_mul_f32_e32 v32, v5, v14
	;; [unrolled: 1-line block ×3, first 2 shown]
	v_fma_f32 v31, v4, v14, -v31
	v_fmac_f32_e32 v32, v4, v15
	v_fmac_f32_e32 v6, v17, v10
	s_waitcnt lgkmcnt(0)
	v_mul_f32_e32 v4, v9, v3
	v_mul_f32_e32 v17, v9, v2
	ds_read_b64 v[12:13], v48
	ds_read_b64 v[14:15], v44
	v_fma_f32 v16, v8, v2, -v4
	v_fmac_f32_e32 v17, v8, v3
	ds_read2st64_b64 v[2:5], v30 offset1:12
	s_waitcnt lgkmcnt(2)
	v_mul_f32_e32 v45, v11, v13
	v_mul_f32_e32 v11, v11, v12
	v_fma_f32 v45, v10, v12, -v45
	v_fmac_f32_e32 v11, v10, v13
	s_waitcnt lgkmcnt(0)
	v_mul_f32_e32 v10, v5, v9
	v_fma_f32 v10, v4, v8, -v10
	v_mul_f32_e32 v12, v4, v9
	v_add_f32_e32 v4, v45, v31
	v_fma_f32 v13, -0.5, v4, v2
	v_add_f32_e32 v4, v11, v32
	v_fma_f32 v46, -0.5, v4, v3
	v_add_f32_e32 v3, v3, v11
	v_add_f32_e32 v2, v2, v45
	v_sub_f32_e32 v11, v11, v32
	v_add_f32_e32 v32, v3, v32
	v_add_f32_e32 v3, v18, v21
	;; [unrolled: 1-line block ×4, first 2 shown]
	v_fmac_f32_e32 v16, -0.5, v3
	v_add_f32_e32 v3, v17, v35
	v_sub_f32_e32 v31, v45, v31
	v_add_f32_e32 v45, v3, v22
	v_add_f32_e32 v3, v35, v22
	v_fmac_f32_e32 v17, -0.5, v3
	v_sub_f32_e32 v48, v35, v22
	v_add_f32_e32 v22, v2, v21
	v_sub_f32_e32 v18, v18, v21
	v_mov_b32_e32 v2, v16
	v_mov_b32_e32 v3, v17
	v_fmac_f32_e32 v2, 0x3f5db3d7, v48
	v_fmac_f32_e32 v3, 0xbf5db3d7, v18
	v_mov_b32_e32 v49, v13
	v_fmac_f32_e32 v16, 0xbf5db3d7, v48
	v_fmac_f32_e32 v12, v5, v8
	v_mul_f32_e32 v21, 0x3f5db3d7, v3
	v_mul_f32_e32 v35, 0xbf5db3d7, v2
	v_fmac_f32_e32 v49, 0x3f5db3d7, v11
	v_mov_b32_e32 v50, v46
	ds_read_b64 v[8:9], v30 offset:22528
	v_fmac_f32_e32 v13, 0xbf5db3d7, v11
	v_fmac_f32_e32 v17, 0x3f5db3d7, v18
	v_mul_f32_e32 v11, -0.5, v16
	v_fmac_f32_e32 v21, 0.5, v2
	v_fmac_f32_e32 v35, 0.5, v3
	v_fmac_f32_e32 v50, 0xbf5db3d7, v31
	v_fmac_f32_e32 v11, 0x3f5db3d7, v17
	v_mul_f32_e32 v17, -0.5, v17
	v_add_f32_e32 v2, v47, v22
	v_add_f32_e32 v3, v32, v45
	;; [unrolled: 1-line block ×4, first 2 shown]
	v_fmac_f32_e32 v46, 0x3f5db3d7, v31
	v_fmac_f32_e32 v17, 0xbf5db3d7, v16
	s_waitcnt lgkmcnt(0)
	s_barrier
	ds_write2st64_b64 v51, v[2:3], v[4:5] offset1:1
	v_sub_f32_e32 v2, v47, v22
	v_sub_f32_e32 v3, v32, v45
	v_add_f32_e32 v4, v13, v11
	v_add_f32_e32 v5, v46, v17
	ds_write2st64_b64 v51, v[4:5], v[2:3] offset0:2 offset1:3
	v_sub_f32_e32 v2, v49, v21
	v_sub_f32_e32 v3, v50, v35
	;; [unrolled: 1-line block ×4, first 2 shown]
	ds_write2st64_b64 v51, v[2:3], v[4:5] offset0:4 offset1:5
	v_mul_f32_e32 v2, v9, v29
	v_fma_f32 v2, v8, v28, -v2
	v_mul_f32_e32 v3, v8, v29
	v_add_f32_e32 v13, v33, v2
	v_fmac_f32_e32 v3, v9, v28
	v_add_f32_e32 v11, v10, v33
	v_fmac_f32_e32 v10, -0.5, v13
	v_add_f32_e32 v13, v12, v34
	v_add_f32_e32 v13, v13, v3
	v_sub_f32_e32 v16, v34, v3
	v_add_f32_e32 v3, v34, v3
	v_fmac_f32_e32 v12, -0.5, v3
	v_add_f32_e32 v4, v15, v6
	v_sub_f32_e32 v17, v33, v2
	v_mov_b32_e32 v3, v12
	v_add_f32_e32 v8, v4, v20
	v_add_f32_e32 v4, v6, v20
	;; [unrolled: 1-line block ×3, first 2 shown]
	v_mov_b32_e32 v2, v10
	v_fmac_f32_e32 v3, 0xbf5db3d7, v17
	v_fmac_f32_e32 v15, -0.5, v4
	v_add_f32_e32 v4, v14, v23
	v_fmac_f32_e32 v2, 0x3f5db3d7, v16
	v_mul_f32_e32 v18, 0x3f5db3d7, v3
	v_sub_f32_e32 v5, v6, v20
	v_add_f32_e32 v6, v4, v19
	v_add_f32_e32 v4, v23, v19
	v_sub_f32_e32 v9, v23, v19
	v_fmac_f32_e32 v18, 0.5, v2
	v_mul_f32_e32 v19, 0xbf5db3d7, v2
	v_lshrrev_b32_e32 v2, 2, v26
	v_mul_u32_u24_e32 v2, 24, v2
	v_fma_f32 v14, -0.5, v4, v14
	v_or_b32_e32 v2, v2, v24
	v_mov_b32_e32 v21, v14
	v_mov_b32_e32 v22, v15
	v_fmac_f32_e32 v19, 0.5, v3
	v_lshlrev_b32_e32 v2, 7, v2
	v_fmac_f32_e32 v21, 0x3f5db3d7, v5
	v_fmac_f32_e32 v22, 0xbf5db3d7, v9
	v_add3_u32 v20, 0, v2, v1
	v_add_f32_e32 v1, v6, v11
	v_add_f32_e32 v2, v8, v13
	;; [unrolled: 1-line block ×4, first 2 shown]
	v_fmac_f32_e32 v10, 0xbf5db3d7, v16
	v_fmac_f32_e32 v12, 0x3f5db3d7, v17
	ds_write2st64_b64 v20, v[1:2], v[3:4] offset1:1
	v_mul_f32_e32 v2, -0.5, v10
	v_mul_f32_e32 v4, -0.5, v12
	v_fmac_f32_e32 v14, 0xbf5db3d7, v5
	v_fmac_f32_e32 v15, 0x3f5db3d7, v9
	;; [unrolled: 1-line block ×4, first 2 shown]
	v_sub_f32_e32 v1, v6, v11
	v_add_f32_e32 v28, v14, v2
	v_add_f32_e32 v29, v15, v4
	v_sub_f32_e32 v5, v14, v2
	v_sub_f32_e32 v2, v8, v13
	v_sub_f32_e32 v3, v21, v18
	v_sub_f32_e32 v6, v15, v4
	v_sub_f32_e32 v4, v22, v19
	ds_write2st64_b64 v20, v[28:29], v[1:2] offset0:2 offset1:3
	ds_write2st64_b64 v20, v[3:4], v[5:6] offset0:4 offset1:5
	s_waitcnt lgkmcnt(0)
	s_barrier
	ds_read_b64 v[34:35], v7
	ds_read_b64 v[32:33], v30 offset:21504
	ds_read2st64_b64 v[9:12], v30 offset1:6
	ds_read2st64_b64 v[21:24], v30 offset0:18 offset1:24
	ds_read2st64_b64 v[17:20], v30 offset0:30 offset1:36
                                        ; implicit-def: $vgpr31
                                        ; implicit-def: $vgpr14
	s_and_saveexec_b64 s[16:17], s[6:7]
	s_cbranch_execz .LBB0_4
; %bb.3:
	ds_read2st64_b64 v[1:4], v30 offset0:10 offset1:16
	ds_read2st64_b64 v[5:8], v30 offset0:22 offset1:28
	;; [unrolled: 1-line block ×3, first 2 shown]
	ds_read_b64 v[28:29], v44
	ds_read_b64 v[30:31], v30 offset:23552
.LBB0_4:
	s_or_b64 exec, exec, s[16:17]
	v_mul_u32_u24_e32 v44, 7, v40
	v_lshlrev_b32_e32 v58, 3, v44
	global_load_dwordx2 v[56:57], v58, s[14:15] offset:224
	global_load_dwordx4 v[44:47], v58, s[14:15] offset:208
	global_load_dwordx4 v[48:51], v58, s[14:15] offset:192
	;; [unrolled: 1-line block ×3, first 2 shown]
	s_load_dwordx2 s[4:5], s[4:5], 0x8
	s_movk_i32 s6, 0xa8
	s_waitcnt vmcnt(2) lgkmcnt(0)
	v_mul_f32_e32 v59, v47, v19
	v_fmac_f32_e32 v59, v46, v20
	s_waitcnt vmcnt(0)
	v_mul_f32_e32 v58, v53, v12
	v_fma_f32 v58, v52, v11, -v58
	v_mul_f32_e32 v53, v53, v11
	v_mul_f32_e32 v11, v55, v35
	v_fmac_f32_e32 v53, v52, v12
	v_fma_f32 v52, v54, v34, -v11
	v_mul_f32_e32 v55, v55, v34
	v_mul_f32_e32 v11, v49, v22
	v_fmac_f32_e32 v55, v54, v35
	;; [unrolled: 4-line block ×5, first 2 shown]
	v_fma_f32 v18, v46, v19, -v11
	v_mul_f32_e32 v11, v57, v33
	v_fma_f32 v60, v56, v32, -v11
	v_mul_lo_u16_e32 v11, 11, v26
	v_lshrrev_b16_e32 v19, 8, v11
	v_mul_lo_u16_e32 v11, 24, v19
	v_sub_u16_e32 v11, v26, v11
	v_and_b32_e32 v20, 0xff, v11
	v_mul_f32_e32 v57, v57, v32
	v_mul_u32_u24_e32 v11, 7, v20
	v_fmac_f32_e32 v57, v56, v33
	v_lshlrev_b32_e32 v56, 3, v11
	global_load_dwordx2 v[11:12], v56, s[14:15] offset:224
	global_load_dwordx4 v[21:24], v56, s[14:15] offset:208
	global_load_dwordx4 v[32:35], v56, s[14:15] offset:192
	;; [unrolled: 1-line block ×3, first 2 shown]
	v_sub_f32_e32 v17, v53, v17
	s_waitcnt vmcnt(0)
	v_mul_f32_e32 v56, v2, v45
	v_fma_f32 v56, v1, v44, -v56
	v_mul_f32_e32 v1, v1, v45
	v_fmac_f32_e32 v1, v2, v44
	v_mul_f32_e32 v2, v4, v47
	v_fma_f32 v2, v3, v46, -v2
	v_mul_f32_e32 v3, v3, v47
	v_fmac_f32_e32 v3, v4, v46
	;; [unrolled: 4-line block ×4, first 2 shown]
	v_mul_f32_e32 v8, v14, v22
	v_fma_f32 v8, v13, v21, -v8
	v_mul_f32_e32 v22, v13, v22
	v_mul_f32_e32 v13, v16, v24
	v_fmac_f32_e32 v22, v14, v21
	v_fma_f32 v21, v15, v23, -v13
	v_mul_f32_e32 v24, v15, v24
	v_mul_f32_e32 v13, v31, v12
	v_fmac_f32_e32 v24, v16, v23
	v_fma_f32 v23, v30, v11, -v13
	v_mul_f32_e32 v30, v30, v12
	v_sub_f32_e32 v12, v10, v51
	v_sub_f32_e32 v14, v55, v59
	;; [unrolled: 1-line block ×3, first 2 shown]
	v_fmac_f32_e32 v30, v31, v11
	v_sub_f32_e32 v11, v9, v48
	v_fma_f32 v10, v10, 2.0, -v12
	v_sub_f32_e32 v13, v52, v18
	v_fma_f32 v16, v55, 2.0, -v14
	;; [unrolled: 2-line block ×4, first 2 shown]
	v_fma_f32 v9, v9, 2.0, -v11
	v_fma_f32 v15, v52, 2.0, -v13
	;; [unrolled: 1-line block ×4, first 2 shown]
	v_sub_f32_e32 v16, v10, v16
	v_sub_f32_e32 v46, v11, v14
	v_add_f32_e32 v47, v12, v13
	v_sub_f32_e32 v44, v32, v44
	v_sub_f32_e32 v45, v9, v15
	v_fma_f32 v15, v10, 2.0, -v16
	v_fma_f32 v14, v11, 2.0, -v46
	;; [unrolled: 1-line block ×3, first 2 shown]
	v_sub_f32_e32 v35, v31, v35
	v_fma_f32 v11, v32, 2.0, -v44
	v_add_f32_e32 v32, v17, v33
	v_fma_f32 v10, v31, 2.0, -v35
	v_sub_f32_e32 v31, v18, v34
	v_fma_f32 v17, v17, 2.0, -v32
	v_sub_f32_e32 v11, v15, v11
	v_mov_b32_e32 v13, v48
	v_fma_f32 v18, v18, 2.0, -v31
	v_fma_f32 v34, v15, 2.0, -v11
	v_mov_b32_e32 v12, v14
	v_fmac_f32_e32 v13, 0xbf3504f3, v17
	v_add_f32_e32 v15, v16, v35
	v_sub_f32_e32 v6, v28, v6
	v_sub_f32_e32 v7, v29, v7
	;; [unrolled: 1-line block ×5, first 2 shown]
	v_fmac_f32_e32 v12, 0xbf3504f3, v18
	v_fmac_f32_e32 v13, 0x3f3504f3, v18
	v_fma_f32 v52, v16, 2.0, -v15
	v_mov_b32_e32 v16, v46
	v_fma_f32 v18, v28, 2.0, -v6
	v_fma_f32 v28, v29, 2.0, -v7
	;; [unrolled: 1-line block ×5, first 2 shown]
	v_fmac_f32_e32 v12, 0xbf3504f3, v17
	v_fmac_f32_e32 v16, 0x3f3504f3, v31
	v_mov_b32_e32 v17, v47
	v_sub_f32_e32 v8, v56, v8
	v_sub_f32_e32 v23, v4, v23
	;; [unrolled: 1-line block ×4, first 2 shown]
	v_fma_f32 v49, v14, 2.0, -v12
	v_sub_f32_e32 v14, v45, v44
	v_fmac_f32_e32 v17, 0x3f3504f3, v32
	v_fmac_f32_e32 v16, 0xbf3504f3, v32
	v_sub_f32_e32 v21, v2, v21
	v_fma_f32 v29, v56, 2.0, -v8
	v_fma_f32 v4, v4, 2.0, -v23
	;; [unrolled: 1-line block ×3, first 2 shown]
	v_sub_f32_e32 v32, v6, v24
	v_fma_f32 v1, v1, 2.0, -v5
	v_fma_f32 v9, v9, 2.0, -v45
	;; [unrolled: 1-line block ×3, first 2 shown]
	v_fmac_f32_e32 v17, 0x3f3504f3, v31
	v_add_f32_e32 v33, v7, v21
	v_fma_f32 v6, v6, 2.0, -v32
	v_sub_f32_e32 v4, v29, v4
	v_sub_f32_e32 v45, v8, v30
	;; [unrolled: 1-line block ×3, first 2 shown]
	v_fma_f32 v50, v48, 2.0, -v13
	v_fma_f32 v2, v2, 2.0, -v21
	;; [unrolled: 1-line block ×3, first 2 shown]
	v_add_f32_e32 v55, v22, v23
	v_fma_f32 v8, v8, 2.0, -v45
	v_fma_f32 v48, v28, 2.0, -v31
	v_mov_b32_e32 v28, v6
	v_add_f32_e32 v24, v3, v4
	v_sub_f32_e32 v2, v18, v2
	v_fma_f32 v21, v29, 2.0, -v4
	v_fma_f32 v22, v22, 2.0, -v55
	v_fmac_f32_e32 v28, 0xbf3504f3, v8
	v_mov_b32_e32 v29, v7
	v_fma_f32 v44, v3, 2.0, -v24
	v_mul_lo_u32 v3, v27, v40
	v_fma_f32 v18, v18, 2.0, -v2
	v_fmac_f32_e32 v29, 0xbf3504f3, v22
	v_fmac_f32_e32 v28, 0xbf3504f3, v22
	v_mov_b32_e32 v22, v33
	v_sub_f32_e32 v30, v18, v21
	v_mov_b32_e32 v21, v32
	v_fmac_f32_e32 v22, 0x3f3504f3, v55
	v_fmac_f32_e32 v21, 0x3f3504f3, v45
	v_fmac_f32_e32 v22, 0x3f3504f3, v45
	v_mov_b32_e32 v45, 3
	v_sub_f32_e32 v23, v2, v5
	v_lshlrev_b32_sdwa v1, v45, v3 dst_sel:DWORD dst_unused:UNUSED_PAD src0_sel:DWORD src1_sel:BYTE_0
	v_lshlrev_b32_sdwa v3, v45, v3 dst_sel:DWORD dst_unused:UNUSED_PAD src0_sel:DWORD src1_sel:BYTE_1
	v_fma_f32 v35, v2, 2.0, -v23
	global_load_dwordx2 v[1:2], v1, s[4:5]
	v_sub_f32_e32 v10, v9, v10
	global_load_dwordx2 v[3:4], v3, s[4:5] offset:2048
	v_fma_f32 v9, v9, 2.0, -v10
	v_fma_f32 v53, v46, 2.0, -v16
	;; [unrolled: 1-line block ×3, first 2 shown]
	v_fmac_f32_e32 v29, 0x3f3504f3, v8
	v_fma_f32 v54, v47, 2.0, -v17
	v_fma_f32 v47, v7, 2.0, -v29
	;; [unrolled: 1-line block ×3, first 2 shown]
	v_fmac_f32_e32 v21, 0xbf3504f3, v55
	v_fma_f32 v33, v33, 2.0, -v22
	v_fma_f32 v32, v32, 2.0, -v21
	s_waitcnt vmcnt(0)
	v_mul_f32_e32 v5, v2, v4
	v_mul_f32_e32 v4, v1, v4
	v_fmac_f32_e32 v4, v2, v3
	v_fma_f32 v5, v1, v3, -v5
	v_mul_f32_e32 v2, v9, v4
	v_mul_f32_e32 v1, v34, v4
	v_fmac_f32_e32 v2, v34, v5
	v_add_u32_e32 v34, 24, v40
	v_fma_f32 v1, v9, v5, -v1
	v_mul_lo_u32 v5, v27, v34
	v_lshlrev_b32_sdwa v3, v45, v5 dst_sel:DWORD dst_unused:UNUSED_PAD src0_sel:DWORD src1_sel:BYTE_0
	v_lshlrev_b32_sdwa v5, v45, v5 dst_sel:DWORD dst_unused:UNUSED_PAD src0_sel:DWORD src1_sel:BYTE_1
	global_load_dwordx2 v[3:4], v3, s[4:5]
	s_nop 0
	global_load_dwordx2 v[5:6], v5, s[4:5] offset:2048
	s_waitcnt vmcnt(0)
	v_mul_f32_e32 v7, v4, v6
	v_mul_f32_e32 v6, v3, v6
	v_fmac_f32_e32 v6, v4, v5
	v_fma_f32 v7, v3, v5, -v7
	v_mul_f32_e32 v3, v50, v6
	v_mul_f32_e32 v4, v49, v6
	v_fma_f32 v3, v49, v7, -v3
	v_fmac_f32_e32 v4, v50, v7
	v_mul_lo_u32 v7, v27, v43
	v_add_u32_e32 v43, 0x48, v40
	v_lshlrev_b32_sdwa v5, v45, v7 dst_sel:DWORD dst_unused:UNUSED_PAD src0_sel:DWORD src1_sel:BYTE_0
	v_lshlrev_b32_sdwa v7, v45, v7 dst_sel:DWORD dst_unused:UNUSED_PAD src0_sel:DWORD src1_sel:BYTE_1
	global_load_dwordx2 v[5:6], v5, s[4:5]
	s_nop 0
	global_load_dwordx2 v[7:8], v7, s[4:5] offset:2048
	s_waitcnt vmcnt(0)
	v_mul_f32_e32 v9, v6, v8
	v_mul_f32_e32 v8, v5, v8
	v_fmac_f32_e32 v8, v6, v7
	v_fma_f32 v9, v5, v7, -v9
	v_mul_f32_e32 v5, v52, v8
	v_mul_f32_e32 v6, v51, v8
	v_fma_f32 v5, v51, v9, -v5
	v_fmac_f32_e32 v6, v52, v9
	v_mul_lo_u32 v9, v27, v43
	v_lshlrev_b32_sdwa v7, v45, v9 dst_sel:DWORD dst_unused:UNUSED_PAD src0_sel:DWORD src1_sel:BYTE_0
	v_lshlrev_b32_sdwa v9, v45, v9 dst_sel:DWORD dst_unused:UNUSED_PAD src0_sel:DWORD src1_sel:BYTE_1
	global_load_dwordx2 v[7:8], v7, s[4:5]
	s_nop 0
	global_load_dwordx2 v[49:50], v9, s[4:5] offset:2048
	s_waitcnt vmcnt(0)
	v_mul_f32_e32 v9, v8, v50
	v_mul_f32_e32 v50, v7, v50
	v_fmac_f32_e32 v50, v8, v49
	v_fma_f32 v9, v7, v49, -v9
	v_mul_f32_e32 v7, v54, v50
	v_mul_f32_e32 v8, v53, v50
	v_fma_f32 v7, v53, v9, -v7
	v_fmac_f32_e32 v8, v54, v9
	v_mul_lo_u32 v9, v27, v42
	v_lshlrev_b32_sdwa v42, v45, v9 dst_sel:DWORD dst_unused:UNUSED_PAD src0_sel:DWORD src1_sel:BYTE_0
	v_lshlrev_b32_sdwa v9, v45, v9 dst_sel:DWORD dst_unused:UNUSED_PAD src0_sel:DWORD src1_sel:BYTE_1
	global_load_dwordx2 v[49:50], v42, s[4:5]
	global_load_dwordx2 v[51:52], v9, s[4:5] offset:2048
	s_waitcnt vmcnt(0)
	v_mul_f32_e32 v9, v50, v52
	v_fma_f32 v42, v49, v51, -v9
	v_mul_f32_e32 v49, v49, v52
	v_fmac_f32_e32 v49, v50, v51
	v_mul_f32_e32 v9, v11, v49
	v_fma_f32 v9, v10, v42, -v9
	v_mul_f32_e32 v10, v10, v49
	v_fmac_f32_e32 v10, v11, v42
	v_add_u32_e32 v42, 0x78, v40
	v_mul_lo_u32 v11, v27, v42
	v_add_u32_e32 v40, 0xa8, v40
	v_lshlrev_b32_sdwa v49, v45, v11 dst_sel:DWORD dst_unused:UNUSED_PAD src0_sel:DWORD src1_sel:BYTE_0
	v_lshlrev_b32_sdwa v11, v45, v11 dst_sel:DWORD dst_unused:UNUSED_PAD src0_sel:DWORD src1_sel:BYTE_1
	global_load_dwordx2 v[49:50], v49, s[4:5]
	s_nop 0
	global_load_dwordx2 v[51:52], v11, s[4:5] offset:2048
	s_waitcnt vmcnt(0)
	v_mul_f32_e32 v11, v50, v52
	v_fma_f32 v53, v49, v51, -v11
	v_mul_f32_e32 v49, v49, v52
	v_fmac_f32_e32 v49, v50, v51
	v_mul_f32_e32 v11, v13, v49
	v_fma_f32 v11, v12, v53, -v11
	v_mul_f32_e32 v12, v12, v49
	v_fmac_f32_e32 v12, v13, v53
	v_mul_lo_u32 v13, v27, v41
	v_lshlrev_b32_sdwa v41, v45, v13 dst_sel:DWORD dst_unused:UNUSED_PAD src0_sel:DWORD src1_sel:BYTE_0
	v_lshlrev_b32_sdwa v13, v45, v13 dst_sel:DWORD dst_unused:UNUSED_PAD src0_sel:DWORD src1_sel:BYTE_1
	global_load_dwordx2 v[49:50], v41, s[4:5]
	global_load_dwordx2 v[51:52], v13, s[4:5] offset:2048
	s_waitcnt vmcnt(0)
	v_mul_f32_e32 v13, v50, v52
	v_fma_f32 v41, v49, v51, -v13
	v_mul_f32_e32 v49, v49, v52
	v_fmac_f32_e32 v49, v50, v51
	v_mul_f32_e32 v13, v15, v49
	v_fma_f32 v13, v14, v41, -v13
	v_mul_f32_e32 v14, v14, v49
	v_fmac_f32_e32 v14, v15, v41
	v_mul_lo_u32 v15, v27, v40
	v_lshlrev_b32_sdwa v41, v45, v15 dst_sel:DWORD dst_unused:UNUSED_PAD src0_sel:DWORD src1_sel:BYTE_0
	v_lshlrev_b32_sdwa v15, v45, v15 dst_sel:DWORD dst_unused:UNUSED_PAD src0_sel:DWORD src1_sel:BYTE_1
	global_load_dwordx2 v[49:50], v41, s[4:5]
	;; [unrolled: 14-line block ×3, first 2 shown]
	global_load_dwordx2 v[51:52], v17, s[4:5] offset:2048
	s_waitcnt vmcnt(0)
	v_mul_f32_e32 v17, v50, v52
	v_fma_f32 v41, v49, v51, -v17
	v_mul_f32_e32 v49, v49, v52
	v_fmac_f32_e32 v49, v50, v51
	v_mul_f32_e32 v17, v48, v49
	v_fma_f32 v17, v18, v41, -v17
	v_mul_f32_e32 v18, v18, v49
	v_fmac_f32_e32 v18, v48, v41
	v_add_u32_e32 v41, 24, v20
	v_mul_lo_u32 v41, v27, v41
	v_lshlrev_b32_sdwa v48, v45, v41 dst_sel:DWORD dst_unused:UNUSED_PAD src0_sel:DWORD src1_sel:BYTE_0
	v_lshlrev_b32_sdwa v41, v45, v41 dst_sel:DWORD dst_unused:UNUSED_PAD src0_sel:DWORD src1_sel:BYTE_1
	global_load_dwordx2 v[48:49], v48, s[4:5]
	s_nop 0
	global_load_dwordx2 v[50:51], v41, s[4:5] offset:2048
	s_waitcnt vmcnt(0)
	v_mul_f32_e32 v41, v49, v51
	v_mul_f32_e32 v51, v48, v51
	v_fmac_f32_e32 v51, v49, v50
	v_fma_f32 v41, v48, v50, -v41
	v_mul_f32_e32 v48, v47, v51
	v_mul_f32_e32 v49, v46, v51
	v_fma_f32 v48, v46, v41, -v48
	v_fmac_f32_e32 v49, v47, v41
	v_add_u32_e32 v41, 48, v20
	v_mul_lo_u32 v41, v27, v41
	v_lshlrev_b32_sdwa v46, v45, v41 dst_sel:DWORD dst_unused:UNUSED_PAD src0_sel:DWORD src1_sel:BYTE_0
	v_lshlrev_b32_sdwa v41, v45, v41 dst_sel:DWORD dst_unused:UNUSED_PAD src0_sel:DWORD src1_sel:BYTE_1
	global_load_dwordx2 v[46:47], v46, s[4:5]
	s_nop 0
	global_load_dwordx2 v[50:51], v41, s[4:5] offset:2048
	s_waitcnt vmcnt(0)
	v_mul_f32_e32 v41, v47, v51
	v_mul_f32_e32 v51, v46, v51
	v_fmac_f32_e32 v51, v47, v50
	v_fma_f32 v41, v46, v50, -v41
	v_mul_f32_e32 v46, v44, v51
	v_fma_f32 v46, v35, v41, -v46
	v_mul_f32_e32 v47, v35, v51
	v_add_u32_e32 v35, 0x48, v20
	v_mul_lo_u32 v35, v27, v35
	v_fmac_f32_e32 v47, v44, v41
	v_lshlrev_b32_sdwa v41, v45, v35 dst_sel:DWORD dst_unused:UNUSED_PAD src0_sel:DWORD src1_sel:BYTE_0
	v_lshlrev_b32_sdwa v35, v45, v35 dst_sel:DWORD dst_unused:UNUSED_PAD src0_sel:DWORD src1_sel:BYTE_1
	global_load_dwordx2 v[50:51], v41, s[4:5]
	global_load_dwordx2 v[52:53], v35, s[4:5] offset:2048
	s_waitcnt vmcnt(0)
	v_mul_f32_e32 v41, v50, v53
	v_mul_f32_e32 v35, v51, v53
	v_fmac_f32_e32 v41, v51, v52
	v_fma_f32 v35, v50, v52, -v35
	v_mul_f32_e32 v44, v33, v41
	v_fma_f32 v50, v32, v35, -v44
	v_mul_f32_e32 v51, v32, v41
	v_or_b32_e32 v32, 0x60, v20
	v_fmac_f32_e32 v51, v33, v35
	v_mul_lo_u32 v35, v27, v32
	v_lshlrev_b32_sdwa v32, v45, v35 dst_sel:DWORD dst_unused:UNUSED_PAD src0_sel:DWORD src1_sel:BYTE_0
	v_lshlrev_b32_sdwa v35, v45, v35 dst_sel:DWORD dst_unused:UNUSED_PAD src0_sel:DWORD src1_sel:BYTE_1
	global_load_dwordx2 v[32:33], v32, s[4:5]
	s_nop 0
	global_load_dwordx2 v[52:53], v35, s[4:5] offset:2048
	s_waitcnt vmcnt(0)
	v_mul_f32_e32 v41, v32, v53
	v_mul_f32_e32 v35, v33, v53
	v_fmac_f32_e32 v41, v33, v52
	v_fma_f32 v35, v32, v52, -v35
	v_mul_f32_e32 v32, v31, v41
	v_fma_f32 v32, v30, v35, -v32
	v_mul_f32_e32 v33, v30, v41
	v_add_u32_e32 v30, 0x78, v20
	v_fmac_f32_e32 v33, v31, v35
	v_mul_lo_u32 v35, v27, v30
	v_lshlrev_b32_sdwa v30, v45, v35 dst_sel:DWORD dst_unused:UNUSED_PAD src0_sel:DWORD src1_sel:BYTE_0
	v_lshlrev_b32_sdwa v35, v45, v35 dst_sel:DWORD dst_unused:UNUSED_PAD src0_sel:DWORD src1_sel:BYTE_1
	global_load_dwordx2 v[30:31], v30, s[4:5]
	s_nop 0
	global_load_dwordx2 v[52:53], v35, s[4:5] offset:2048
	s_waitcnt vmcnt(0)
	v_mul_f32_e32 v41, v30, v53
	v_mul_f32_e32 v35, v31, v53
	v_fmac_f32_e32 v41, v31, v52
	v_fma_f32 v35, v30, v52, -v35
	v_mul_f32_e32 v30, v29, v41
	v_fma_f32 v30, v28, v35, -v30
	v_mul_f32_e32 v31, v28, v41
	v_add_u32_e32 v28, 0x90, v20
	v_fmac_f32_e32 v31, v29, v35
	v_mul_lo_u32 v35, v27, v28
	v_add_u32_e32 v20, 0xa8, v20
	v_mul_lo_u32 v20, v27, v20
	v_lshlrev_b32_sdwa v28, v45, v35 dst_sel:DWORD dst_unused:UNUSED_PAD src0_sel:DWORD src1_sel:BYTE_0
	v_lshlrev_b32_sdwa v35, v45, v35 dst_sel:DWORD dst_unused:UNUSED_PAD src0_sel:DWORD src1_sel:BYTE_1
	global_load_dwordx2 v[28:29], v28, s[4:5]
	s_nop 0
	global_load_dwordx2 v[52:53], v35, s[4:5] offset:2048
	s_waitcnt vmcnt(0)
	v_mul_f32_e32 v41, v28, v53
	v_mul_f32_e32 v35, v29, v53
	v_fmac_f32_e32 v41, v29, v52
	v_fma_f32 v35, v28, v52, -v35
	v_mul_f32_e32 v28, v24, v41
	v_fma_f32 v28, v23, v35, -v28
	v_mul_f32_e32 v29, v23, v41
	v_lshlrev_b32_sdwa v23, v45, v20 dst_sel:DWORD dst_unused:UNUSED_PAD src0_sel:DWORD src1_sel:BYTE_0
	v_lshlrev_b32_sdwa v20, v45, v20 dst_sel:DWORD dst_unused:UNUSED_PAD src0_sel:DWORD src1_sel:BYTE_1
	v_fmac_f32_e32 v29, v24, v35
	global_load_dwordx2 v[23:24], v23, s[4:5]
	s_nop 0
	global_load_dwordx2 v[44:45], v20, s[4:5] offset:2048
	s_movk_i32 s4, 0x7f
	v_cmp_lt_u32_e64 s[4:5], s4, v0
	s_or_b64 s[0:1], s[4:5], s[0:1]
	s_waitcnt vmcnt(0)
	v_mul_f32_e32 v20, v24, v45
	v_fma_f32 v27, v23, v44, -v20
	v_mul_f32_e32 v23, v23, v45
	v_fmac_f32_e32 v23, v24, v44
	v_mul_f32_e32 v20, v22, v23
	v_fma_f32 v20, v21, v27, -v20
	v_mul_f32_e32 v21, v21, v23
	v_fmac_f32_e32 v21, v22, v27
	v_add_lshl_u32 v22, v25, v37, 3
	v_cndmask_b32_e64 v22, -1, v22, s[2:3]
	buffer_store_dwordx2 v[1:2], v22, s[8:11], s13 offen
	v_mul_lo_u32 v1, s12, v34
	v_add_lshl_u32 v1, v25, v1, 3
	v_cndmask_b32_e64 v1, -1, v1, s[2:3]
	buffer_store_dwordx2 v[3:4], v1, s[8:11], s13 offen
	v_add_lshl_u32 v1, v25, v39, 3
	v_cndmask_b32_e64 v1, -1, v1, s[2:3]
	buffer_store_dwordx2 v[5:6], v1, s[8:11], s13 offen
	v_mul_lo_u32 v1, s12, v43
	v_cndmask_b32_e64 v3, 0, 1, vcc
	v_add_lshl_u32 v1, v25, v1, 3
	v_cndmask_b32_e64 v1, -1, v1, s[2:3]
	buffer_store_dwordx2 v[7:8], v1, s[8:11], s13 offen
	v_add_lshl_u32 v1, v25, v36, 3
	v_cndmask_b32_e64 v1, -1, v1, s[2:3]
	buffer_store_dwordx2 v[9:10], v1, s[8:11], s13 offen
	v_mul_lo_u32 v1, s12, v42
	v_add_lshl_u32 v1, v25, v1, 3
	v_cndmask_b32_e64 v1, -1, v1, s[2:3]
	buffer_store_dwordx2 v[11:12], v1, s[8:11], s13 offen
	v_add_lshl_u32 v1, v25, v38, 3
	v_cndmask_b32_e64 v1, -1, v1, s[2:3]
	buffer_store_dwordx2 v[13:14], v1, s[8:11], s13 offen
	v_mul_lo_u32 v1, s12, v40
	v_add_lshl_u32 v1, v25, v1, 3
	v_cndmask_b32_e64 v1, -1, v1, s[2:3]
	buffer_store_dwordx2 v[15:16], v1, s[8:11], s13 offen
	v_mad_u32_u24 v1, v19, s6, v26
	v_mul_lo_u32 v2, s12, v1
	v_cmp_gt_u32_e64 s[2:3], s18, v0
	v_cndmask_b32_e64 v0, 0, 1, s[2:3]
	v_cndmask_b32_e64 v0, v3, v0, s[0:1]
	v_and_b32_e32 v0, 1, v0
	v_cmp_eq_u32_e32 vcc, 1, v0
	v_add_lshl_u32 v0, v25, v2, 3
	v_cndmask_b32_e32 v0, -1, v0, vcc
	buffer_store_dwordx2 v[17:18], v0, s[8:11], s13 offen
	v_add_u32_e32 v0, 24, v1
	v_mul_lo_u32 v0, s12, v0
	v_add_lshl_u32 v0, v25, v0, 3
	v_cndmask_b32_e32 v0, -1, v0, vcc
	buffer_store_dwordx2 v[48:49], v0, s[8:11], s13 offen
	v_add_u32_e32 v0, 48, v1
	v_mul_lo_u32 v0, s12, v0
	;; [unrolled: 5-line block ×7, first 2 shown]
	v_add_lshl_u32 v0, v25, v0, 3
	v_cndmask_b32_e32 v0, -1, v0, vcc
	buffer_store_dwordx2 v[20:21], v0, s[8:11], s13 offen
	s_endpgm
	.section	.rodata,"a",@progbits
	.p2align	6, 0x0
	.amdhsa_kernel fft_rtc_fwd_len192_factors_2_2_6_8_wgs_256_tpt_16_dim2_sp_ip_CI_sbcc_twdbase8_2step_dirReg_intrinsicReadWrite
		.amdhsa_group_segment_fixed_size 0
		.amdhsa_private_segment_fixed_size 0
		.amdhsa_kernarg_size 88
		.amdhsa_user_sgpr_count 6
		.amdhsa_user_sgpr_private_segment_buffer 1
		.amdhsa_user_sgpr_dispatch_ptr 0
		.amdhsa_user_sgpr_queue_ptr 0
		.amdhsa_user_sgpr_kernarg_segment_ptr 1
		.amdhsa_user_sgpr_dispatch_id 0
		.amdhsa_user_sgpr_flat_scratch_init 0
		.amdhsa_user_sgpr_private_segment_size 0
		.amdhsa_uses_dynamic_stack 0
		.amdhsa_system_sgpr_private_segment_wavefront_offset 0
		.amdhsa_system_sgpr_workgroup_id_x 1
		.amdhsa_system_sgpr_workgroup_id_y 0
		.amdhsa_system_sgpr_workgroup_id_z 0
		.amdhsa_system_sgpr_workgroup_info 0
		.amdhsa_system_vgpr_workitem_id 0
		.amdhsa_next_free_vgpr 61
		.amdhsa_next_free_sgpr 24
		.amdhsa_reserve_vcc 1
		.amdhsa_reserve_flat_scratch 0
		.amdhsa_float_round_mode_32 0
		.amdhsa_float_round_mode_16_64 0
		.amdhsa_float_denorm_mode_32 3
		.amdhsa_float_denorm_mode_16_64 3
		.amdhsa_dx10_clamp 1
		.amdhsa_ieee_mode 1
		.amdhsa_fp16_overflow 0
		.amdhsa_exception_fp_ieee_invalid_op 0
		.amdhsa_exception_fp_denorm_src 0
		.amdhsa_exception_fp_ieee_div_zero 0
		.amdhsa_exception_fp_ieee_overflow 0
		.amdhsa_exception_fp_ieee_underflow 0
		.amdhsa_exception_fp_ieee_inexact 0
		.amdhsa_exception_int_div_zero 0
	.end_amdhsa_kernel
	.text
.Lfunc_end0:
	.size	fft_rtc_fwd_len192_factors_2_2_6_8_wgs_256_tpt_16_dim2_sp_ip_CI_sbcc_twdbase8_2step_dirReg_intrinsicReadWrite, .Lfunc_end0-fft_rtc_fwd_len192_factors_2_2_6_8_wgs_256_tpt_16_dim2_sp_ip_CI_sbcc_twdbase8_2step_dirReg_intrinsicReadWrite
                                        ; -- End function
	.section	.AMDGPU.csdata,"",@progbits
; Kernel info:
; codeLenInByte = 5912
; NumSgprs: 28
; NumVgprs: 61
; ScratchSize: 0
; MemoryBound: 0
; FloatMode: 240
; IeeeMode: 1
; LDSByteSize: 0 bytes/workgroup (compile time only)
; SGPRBlocks: 3
; VGPRBlocks: 15
; NumSGPRsForWavesPerEU: 28
; NumVGPRsForWavesPerEU: 61
; Occupancy: 4
; WaveLimiterHint : 0
; COMPUTE_PGM_RSRC2:SCRATCH_EN: 0
; COMPUTE_PGM_RSRC2:USER_SGPR: 6
; COMPUTE_PGM_RSRC2:TRAP_HANDLER: 0
; COMPUTE_PGM_RSRC2:TGID_X_EN: 1
; COMPUTE_PGM_RSRC2:TGID_Y_EN: 0
; COMPUTE_PGM_RSRC2:TGID_Z_EN: 0
; COMPUTE_PGM_RSRC2:TIDIG_COMP_CNT: 0
	.type	__hip_cuid_e1de5e00cabcb653,@object ; @__hip_cuid_e1de5e00cabcb653
	.section	.bss,"aw",@nobits
	.globl	__hip_cuid_e1de5e00cabcb653
__hip_cuid_e1de5e00cabcb653:
	.byte	0                               ; 0x0
	.size	__hip_cuid_e1de5e00cabcb653, 1

	.ident	"AMD clang version 19.0.0git (https://github.com/RadeonOpenCompute/llvm-project roc-6.4.0 25133 c7fe45cf4b819c5991fe208aaa96edf142730f1d)"
	.section	".note.GNU-stack","",@progbits
	.addrsig
	.addrsig_sym __hip_cuid_e1de5e00cabcb653
	.amdgpu_metadata
---
amdhsa.kernels:
  - .args:
      - .actual_access:  read_only
        .address_space:  global
        .offset:         0
        .size:           8
        .value_kind:     global_buffer
      - .address_space:  global
        .offset:         8
        .size:           8
        .value_kind:     global_buffer
      - .actual_access:  read_only
        .address_space:  global
        .offset:         16
        .size:           8
        .value_kind:     global_buffer
      - .actual_access:  read_only
        .address_space:  global
        .offset:         24
        .size:           8
        .value_kind:     global_buffer
      - .offset:         32
        .size:           8
        .value_kind:     by_value
      - .actual_access:  read_only
        .address_space:  global
        .offset:         40
        .size:           8
        .value_kind:     global_buffer
      - .actual_access:  read_only
        .address_space:  global
        .offset:         48
        .size:           8
        .value_kind:     global_buffer
      - .offset:         56
        .size:           4
        .value_kind:     by_value
      - .actual_access:  read_only
        .address_space:  global
        .offset:         64
        .size:           8
        .value_kind:     global_buffer
      - .actual_access:  read_only
        .address_space:  global
        .offset:         72
        .size:           8
        .value_kind:     global_buffer
      - .address_space:  global
        .offset:         80
        .size:           8
        .value_kind:     global_buffer
    .group_segment_fixed_size: 0
    .kernarg_segment_align: 8
    .kernarg_segment_size: 88
    .language:       OpenCL C
    .language_version:
      - 2
      - 0
    .max_flat_workgroup_size: 256
    .name:           fft_rtc_fwd_len192_factors_2_2_6_8_wgs_256_tpt_16_dim2_sp_ip_CI_sbcc_twdbase8_2step_dirReg_intrinsicReadWrite
    .private_segment_fixed_size: 0
    .sgpr_count:     28
    .sgpr_spill_count: 0
    .symbol:         fft_rtc_fwd_len192_factors_2_2_6_8_wgs_256_tpt_16_dim2_sp_ip_CI_sbcc_twdbase8_2step_dirReg_intrinsicReadWrite.kd
    .uniform_work_group_size: 1
    .uses_dynamic_stack: false
    .vgpr_count:     61
    .vgpr_spill_count: 0
    .wavefront_size: 64
amdhsa.target:   amdgcn-amd-amdhsa--gfx906
amdhsa.version:
  - 1
  - 2
...

	.end_amdgpu_metadata
